;; amdgpu-corpus repo=ROCm/rocFFT kind=compiled arch=gfx1030 opt=O3
	.text
	.amdgcn_target "amdgcn-amd-amdhsa--gfx1030"
	.amdhsa_code_object_version 6
	.protected	fft_rtc_fwd_len84_factors_2_6_7_wgs_189_tpt_7_dim2_sp_ip_CI_sbcc_twdbase8_3step_dirReg ; -- Begin function fft_rtc_fwd_len84_factors_2_6_7_wgs_189_tpt_7_dim2_sp_ip_CI_sbcc_twdbase8_3step_dirReg
	.globl	fft_rtc_fwd_len84_factors_2_6_7_wgs_189_tpt_7_dim2_sp_ip_CI_sbcc_twdbase8_3step_dirReg
	.p2align	8
	.type	fft_rtc_fwd_len84_factors_2_6_7_wgs_189_tpt_7_dim2_sp_ip_CI_sbcc_twdbase8_3step_dirReg,@function
fft_rtc_fwd_len84_factors_2_6_7_wgs_189_tpt_7_dim2_sp_ip_CI_sbcc_twdbase8_3step_dirReg: ; @fft_rtc_fwd_len84_factors_2_6_7_wgs_189_tpt_7_dim2_sp_ip_CI_sbcc_twdbase8_3step_dirReg
; %bb.0:
	s_load_dwordx4 s[0:3], s[4:5], 0x10
	s_mov_b64 s[20:21], 0
	s_waitcnt lgkmcnt(0)
	s_load_dwordx2 s[14:15], s[0:1], 0x8
	s_waitcnt lgkmcnt(0)
	s_add_u32 s0, s14, -1
	s_addc_u32 s1, s15, -1
	s_add_u32 s7, 0, 0xd0975000
	s_addc_u32 s8, 0, 30
	s_mul_hi_u32 s10, s7, 0xffffffe5
	s_add_i32 s8, s8, 0x97b4240
	s_sub_i32 s10, s10, s7
	s_mul_i32 s12, s8, 0xffffffe5
	s_mul_i32 s9, s7, 0xffffffe5
	s_add_i32 s10, s10, s12
	s_mul_hi_u32 s11, s7, s9
	s_mul_i32 s16, s7, s10
	s_mul_hi_u32 s12, s7, s10
	s_mul_hi_u32 s13, s8, s9
	s_mul_i32 s9, s8, s9
	s_add_u32 s11, s11, s16
	s_addc_u32 s12, 0, s12
	s_mul_hi_u32 s17, s8, s10
	s_add_u32 s9, s11, s9
	s_mul_i32 s10, s8, s10
	s_addc_u32 s9, s12, s13
	s_addc_u32 s11, s17, 0
	s_add_u32 s9, s9, s10
	v_add_co_u32 v1, s7, s7, s9
	s_addc_u32 s9, 0, s11
	s_cmp_lg_u32 s7, 0
	s_addc_u32 s7, s8, s9
	v_readfirstlane_b32 s8, v1
	s_mul_i32 s10, s0, s7
	s_mul_hi_u32 s9, s0, s7
	s_mul_hi_u32 s11, s1, s7
	s_mul_i32 s7, s1, s7
	s_mul_hi_u32 s12, s0, s8
	s_mul_hi_u32 s13, s1, s8
	s_mul_i32 s8, s1, s8
	s_add_u32 s10, s12, s10
	s_addc_u32 s9, 0, s9
	s_add_u32 s8, s10, s8
	s_addc_u32 s8, s9, s13
	s_addc_u32 s9, s11, 0
	s_add_u32 s8, s8, s7
	s_addc_u32 s9, 0, s9
	s_mul_i32 s10, s8, 27
	s_add_u32 s7, s8, 1
	v_sub_co_u32 v1, s0, s0, s10
	s_mul_hi_u32 s10, s8, 27
	s_addc_u32 s11, s9, 0
	s_mul_i32 s12, s9, 27
	v_sub_co_u32 v2, s13, v1, 27
	s_add_u32 s16, s8, 2
	s_addc_u32 s17, s9, 0
	s_add_i32 s10, s10, s12
	s_cmp_lg_u32 s0, 0
	v_readfirstlane_b32 s0, v2
	s_subb_u32 s1, s1, s10
	s_cmp_lg_u32 s13, 0
	s_load_dwordx2 s[12:13], s[2:3], 0x0
	s_subb_u32 s10, s1, 0
	s_cmp_gt_u32 s0, 26
	s_cselect_b32 s0, -1, 0
	s_cmp_eq_u32 s10, 0
	v_readfirstlane_b32 s10, v1
	s_cselect_b32 s0, s0, -1
	s_cmp_lg_u32 s0, 0
	s_cselect_b32 s0, s16, s7
	s_cselect_b32 s11, s17, s11
	s_cmp_gt_u32 s10, 26
	s_load_dwordx2 s[16:17], s[4:5], 0x50
	s_cselect_b32 s7, -1, 0
	s_cmp_eq_u32 s1, 0
	s_cselect_b32 s1, s7, -1
	s_mov_b32 s7, 0
	s_cmp_lg_u32 s1, 0
	s_cselect_b32 s0, s0, s8
	s_cselect_b32 s1, s11, s9
	s_add_u32 s0, s0, 1
	s_addc_u32 s1, s1, 0
	v_cmp_lt_u64_e64 s8, s[6:7], s[0:1]
	s_mov_b32 s7, -1
	s_and_b32 vcc_lo, exec_lo, s8
	s_cbranch_vccnz .LBB0_2
; %bb.1:
	v_cvt_f32_u32_e32 v1, s0
	s_sub_i32 s9, 0, s0
	v_rcp_iflag_f32_e32 v1, v1
	v_mul_f32_e32 v1, 0x4f7ffffe, v1
	v_cvt_u32_f32_e32 v1, v1
	v_readfirstlane_b32 s8, v1
	s_mul_i32 s9, s9, s8
	s_mul_hi_u32 s9, s8, s9
	s_add_i32 s8, s8, s9
	s_mul_hi_u32 s8, s6, s8
	s_mul_i32 s9, s8, s0
	s_add_i32 s10, s8, 1
	s_sub_i32 s9, s6, s9
	s_sub_i32 s11, s9, s0
	s_cmp_ge_u32 s9, s0
	s_cselect_b32 s8, s10, s8
	s_cselect_b32 s9, s11, s9
	s_add_i32 s10, s8, 1
	s_cmp_ge_u32 s9, s0
	s_cselect_b32 s20, s10, s8
.LBB0_2:
	s_load_dwordx4 s[8:11], s[2:3], 0x8
	v_mul_u32_u24_e32 v1, 0x97c, v0
	s_mul_i32 s1, s20, s1
	s_mul_hi_u32 s2, s20, s0
	s_mul_i32 s0, s20, s0
	s_add_i32 s2, s2, s1
	v_lshrrev_b32_e32 v86, 16, v1
	s_sub_u32 s0, s6, s0
	s_subb_u32 s1, 0, s2
	s_load_dwordx2 s[18:19], s[4:5], 0x0
	s_mul_hi_u32 s2, s0, 27
	v_mul_lo_u16 v1, v86, 27
	s_mul_i32 s1, s1, 27
	s_mul_i32 s6, s0, 27
	s_add_i32 s21, s2, s1
	v_add_nc_u32_e32 v28, 7, v86
	v_sub_nc_u16 v23, v0, v1
	v_add_nc_u32_e32 v29, 14, v86
	v_add_nc_u32_e32 v30, 28, v86
	s_waitcnt lgkmcnt(0)
	s_mul_i32 s1, s6, s9
	s_mul_hi_u32 s2, s6, s8
	s_mul_i32 s0, s21, s8
	s_mul_i32 s11, s11, s20
	s_mul_hi_u32 s22, s10, s20
	s_add_i32 s1, s2, s1
	s_mul_i32 s3, s6, s8
	s_mul_i32 s2, s10, s20
	s_add_i32 s1, s1, s0
	s_add_i32 s22, s22, s11
	s_add_u32 s2, s2, s3
	s_addc_u32 s3, s22, s1
	v_and_b32_e32 v88, 0xffff, v23
	s_add_u32 s0, s6, 27
	s_addc_u32 s1, s21, 0
	v_cmp_gt_u64_e64 s10, s[0:1], s[14:15]
	v_add_co_u32 v24, s6, s6, v88
	v_cmp_le_u64_e64 s1, s[0:1], s[14:15]
	v_add_co_ci_u32_e64 v25, null, s21, 0, s6
	s_and_b32 vcc_lo, exec_lo, s10
	s_cbranch_vccnz .LBB0_4
; %bb.3:
	v_mad_u64_u32 v[1:2], null, s8, v88, 0
	v_mad_u64_u32 v[3:4], null, s12, v86, 0
	v_add_nc_u32_e32 v11, 42, v86
	v_add_nc_u32_e32 v87, 7, v86
	;; [unrolled: 1-line block ×3, first 2 shown]
	s_lshl_b64 s[6:7], s[2:3], 3
	v_add_nc_u32_e32 v31, 14, v86
	s_add_u32 s0, s16, s6
	v_mad_u64_u32 v[5:6], null, s9, v88, v[2:3]
	v_mad_u64_u32 v[9:10], null, s12, v87, 0
	s_addc_u32 s6, s17, s7
	v_add_nc_u32_e32 v20, 56, v86
	v_add_nc_u32_e32 v22, 21, v86
	;; [unrolled: 1-line block ×3, first 2 shown]
	v_mad_u64_u32 v[6:7], null, s13, v86, v[4:5]
	v_mad_u64_u32 v[7:8], null, s12, v11, 0
	v_mov_b32_e32 v2, v5
	v_mad_u64_u32 v[18:19], null, s12, v22, 0
	v_add_nc_u32_e32 v33, 0x46, v86
	v_mov_b32_e32 v4, v6
	v_mov_b32_e32 v6, v10
	;; [unrolled: 1-line block ×3, first 2 shown]
	v_lshlrev_b64 v[1:2], 3, v[1:2]
	v_add_nc_u32_e32 v38, 35, v86
	v_lshlrev_b64 v[3:4], 3, v[3:4]
	v_mad_u64_u32 v[10:11], null, s13, v11, v[5:6]
	v_mad_u64_u32 v[5:6], null, s13, v87, v[6:7]
	;; [unrolled: 1-line block ×3, first 2 shown]
	v_add_co_u32 v42, vcc_lo, s0, v1
	v_add_co_ci_u32_e32 v43, vcc_lo, s6, v2, vcc_lo
	v_mov_b32_e32 v8, v10
	v_add_co_u32 v1, vcc_lo, v42, v3
	v_add_co_ci_u32_e32 v2, vcc_lo, v43, v4, vcc_lo
	v_mov_b32_e32 v10, v5
	v_lshlrev_b64 v[4:5], 3, v[7:8]
	v_mov_b32_e32 v3, v12
	v_mad_u64_u32 v[26:27], null, s12, v38, 0
	v_mad_u64_u32 v[6:7], null, s13, v13, v[3:4]
	v_lshlrev_b64 v[7:8], 3, v[9:10]
	v_mad_u64_u32 v[9:10], null, s12, v31, 0
	v_add_co_u32 v3, vcc_lo, v42, v4
	v_add_co_ci_u32_e32 v4, vcc_lo, v43, v5, vcc_lo
	v_mov_b32_e32 v12, v6
	v_add_co_u32 v13, vcc_lo, v42, v7
	v_mov_b32_e32 v5, v10
	v_add_co_ci_u32_e32 v14, vcc_lo, v43, v8, vcc_lo
	v_lshlrev_b64 v[6:7], 3, v[11:12]
	v_mad_u64_u32 v[11:12], null, s12, v20, 0
	v_mad_u64_u32 v[15:16], null, s13, v31, v[5:6]
	v_add_co_u32 v16, vcc_lo, v42, v6
	v_mov_b32_e32 v5, v12
	v_add_co_ci_u32_e32 v17, vcc_lo, v43, v7, vcc_lo
	v_mov_b32_e32 v10, v15
	v_mad_u64_u32 v[20:21], null, s13, v20, v[5:6]
	s_clause 0x3
	global_load_dwordx2 v[5:6], v[1:2], off
	global_load_dwordx2 v[7:8], v[3:4], off
	;; [unrolled: 1-line block ×4, first 2 shown]
	v_mov_b32_e32 v13, v19
	v_add_nc_u32_e32 v21, 63, v86
	v_mad_u64_u32 v[16:17], null, s12, v32, 0
	v_lshlrev_b64 v[9:10], 3, v[9:10]
	v_mad_u64_u32 v[13:14], null, s13, v22, v[13:14]
	v_mad_u64_u32 v[14:15], null, s12, v21, 0
	v_mov_b32_e32 v12, v20
	v_add_co_u32 v9, vcc_lo, v42, v9
	v_add_co_ci_u32_e32 v10, vcc_lo, v43, v10, vcc_lo
	v_mov_b32_e32 v19, v13
	v_mov_b32_e32 v13, v15
	v_lshlrev_b64 v[11:12], 3, v[11:12]
	v_mad_u64_u32 v[20:21], null, s13, v21, v[13:14]
	v_mad_u64_u32 v[21:22], null, s12, v33, 0
	v_mov_b32_e32 v13, v17
	v_lshlrev_b64 v[17:18], 3, v[18:19]
	v_add_co_u32 v11, vcc_lo, v42, v11
	v_mov_b32_e32 v15, v20
	v_mad_u64_u32 v[19:20], null, s13, v32, v[13:14]
	v_mov_b32_e32 v13, v22
	v_add_nc_u32_e32 v20, 0x4d, v86
	v_add_co_ci_u32_e32 v12, vcc_lo, v43, v12, vcc_lo
	v_add_co_u32 v36, vcc_lo, v42, v17
	v_mad_u64_u32 v[33:34], null, s13, v33, v[13:14]
	v_mad_u64_u32 v[34:35], null, s12, v20, 0
	v_lshlrev_b64 v[14:15], 3, v[14:15]
	v_mov_b32_e32 v13, v27
	v_add_co_ci_u32_e32 v37, vcc_lo, v43, v18, vcc_lo
	v_mov_b32_e32 v17, v19
	v_mov_b32_e32 v22, v33
	v_mad_u64_u32 v[18:19], null, s13, v38, v[13:14]
	v_mov_b32_e32 v13, v35
	v_add_co_u32 v14, vcc_lo, v42, v14
	v_lshlrev_b64 v[16:17], 3, v[16:17]
	v_add_co_ci_u32_e32 v15, vcc_lo, v43, v15, vcc_lo
	v_mad_u64_u32 v[19:20], null, s13, v20, v[13:14]
	v_mov_b32_e32 v27, v18
	v_lshlrev_b64 v[20:21], 3, v[21:22]
	v_add_co_u32 v38, vcc_lo, v42, v16
	v_add_co_ci_u32_e32 v39, vcc_lo, v43, v17, vcc_lo
	v_mov_b32_e32 v35, v19
	v_lshlrev_b64 v[16:17], 3, v[26:27]
	v_add_co_u32 v40, vcc_lo, v42, v20
	v_add_co_ci_u32_e32 v41, vcc_lo, v43, v21, vcc_lo
	v_lshlrev_b64 v[18:19], 3, v[34:35]
	v_add_co_u32 v33, vcc_lo, v42, v16
	v_add_co_ci_u32_e32 v34, vcc_lo, v43, v17, vcc_lo
	v_add_co_u32 v42, vcc_lo, v42, v18
	v_add_co_ci_u32_e32 v43, vcc_lo, v43, v19, vcc_lo
	s_clause 0x7
	global_load_dwordx2 v[21:22], v[9:10], off
	global_load_dwordx2 v[19:20], v[11:12], off
	;; [unrolled: 1-line block ×8, first 2 shown]
	s_cbranch_execz .LBB0_5
	s_branch .LBB0_10
.LBB0_4:
                                        ; implicit-def: $vgpr1
                                        ; implicit-def: $vgpr19
                                        ; implicit-def: $vgpr13
                                        ; implicit-def: $vgpr9
                                        ; implicit-def: $vgpr15
                                        ; implicit-def: $vgpr11
                                        ; implicit-def: $vgpr26
                                        ; implicit-def: $vgpr17
                                        ; implicit-def: $vgpr21
                                        ; implicit-def: $vgpr3
                                        ; implicit-def: $vgpr7
                                        ; implicit-def: $vgpr5
                                        ; implicit-def: $vgpr87
                                        ; implicit-def: $vgpr31
                                        ; implicit-def: $vgpr32
	s_andn2_b32 vcc_lo, exec_lo, s7
	s_cbranch_vccnz .LBB0_10
.LBB0_5:
	s_mov_b32 s0, exec_lo
                                        ; implicit-def: $vgpr87
                                        ; implicit-def: $vgpr31
                                        ; implicit-def: $vgpr32
	v_cmpx_le_u64_e64 s[14:15], v[24:25]
	s_xor_b32 s0, exec_lo, s0
; %bb.6:
	v_add_nc_u32_e32 v87, 7, v86
	v_add_nc_u32_e32 v31, 14, v86
	v_add_nc_u32_e32 v32, 28, v86
                                        ; implicit-def: $vgpr28
                                        ; implicit-def: $vgpr29
                                        ; implicit-def: $vgpr30
; %bb.7:
	s_or_saveexec_b32 s0, s0
                                        ; implicit-def: $vgpr1
                                        ; implicit-def: $vgpr19
                                        ; implicit-def: $vgpr13
                                        ; implicit-def: $vgpr9
                                        ; implicit-def: $vgpr15
                                        ; implicit-def: $vgpr11
                                        ; implicit-def: $vgpr26
                                        ; implicit-def: $vgpr17
                                        ; implicit-def: $vgpr21
                                        ; implicit-def: $vgpr3
                                        ; implicit-def: $vgpr7
                                        ; implicit-def: $vgpr5
	s_xor_b32 exec_lo, exec_lo, s0
	s_cbranch_execz .LBB0_9
; %bb.8:
	s_waitcnt vmcnt(8)
	v_mad_u64_u32 v[1:2], null, s8, v88, 0
	v_mad_u64_u32 v[3:4], null, s12, v86, 0
	;; [unrolled: 1-line block ×3, first 2 shown]
	s_waitcnt vmcnt(0)
	v_add_nc_u32_e32 v13, 42, v86
	v_add_nc_u32_e32 v14, 49, v86
	s_lshl_b64 s[6:7], s[2:3], 3
	v_add_nc_u32_e32 v19, 56, v86
	v_mad_u64_u32 v[7:8], null, s9, v88, v[2:3]
	v_mad_u64_u32 v[10:11], null, s13, v86, v[4:5]
	;; [unrolled: 1-line block ×4, first 2 shown]
	v_mov_b32_e32 v2, v7
	s_add_u32 s6, s16, s6
	v_mov_b32_e32 v4, v10
	s_addc_u32 s7, s17, s7
	v_mov_b32_e32 v7, v9
	v_lshlrev_b64 v[1:2], 3, v[1:2]
	v_add_nc_u32_e32 v21, 21, v86
	v_lshlrev_b64 v[3:4], 3, v[3:4]
	v_add_nc_u32_e32 v31, 0x46, v86
	v_mad_u64_u32 v[9:10], null, s13, v13, v[7:8]
	v_add_co_u32 v39, vcc_lo, s6, v1
	v_add_co_ci_u32_e32 v40, vcc_lo, s7, v2, vcc_lo
	v_mad_u64_u32 v[1:2], null, s13, v28, v[6:7]
	v_mov_b32_e32 v2, v12
	v_add_co_u32 v3, vcc_lo, v39, v3
	v_lshlrev_b64 v[7:8], 3, v[8:9]
	v_mad_u64_u32 v[9:10], null, s12, v29, 0
	v_mov_b32_e32 v6, v1
	v_mad_u64_u32 v[1:2], null, s13, v14, v[2:3]
	v_mad_u64_u32 v[13:14], null, s12, v19, 0
	v_lshlrev_b64 v[5:6], 3, v[5:6]
	v_add_co_ci_u32_e32 v4, vcc_lo, v40, v4, vcc_lo
	v_add_co_u32 v7, vcc_lo, v39, v7
	v_mov_b32_e32 v12, v1
	v_mov_b32_e32 v1, v10
	v_add_co_ci_u32_e32 v8, vcc_lo, v40, v8, vcc_lo
	v_add_co_u32 v15, vcc_lo, v39, v5
	v_mad_u64_u32 v[1:2], null, s13, v29, v[1:2]
	v_add_co_ci_u32_e32 v16, vcc_lo, v40, v6, vcc_lo
	v_lshlrev_b64 v[5:6], 3, v[11:12]
	v_mov_b32_e32 v2, v14
	v_mad_u64_u32 v[11:12], null, s12, v21, 0
	v_mov_b32_e32 v10, v1
	v_add_nc_u32_e32 v34, 35, v86
	v_mad_u64_u32 v[19:20], null, s13, v19, v[2:3]
	v_add_co_u32 v17, vcc_lo, v39, v5
	v_add_nc_u32_e32 v20, 63, v86
	v_add_co_ci_u32_e32 v18, vcc_lo, v40, v6, vcc_lo
	s_clause 0x3
	global_load_dwordx2 v[5:6], v[3:4], off
	global_load_dwordx2 v[7:8], v[7:8], off
	;; [unrolled: 1-line block ×4, first 2 shown]
	v_mad_u64_u32 v[15:16], null, s13, v21, v[12:13]
	v_mad_u64_u32 v[16:17], null, s12, v20, 0
	v_mov_b32_e32 v14, v19
	v_mad_u64_u32 v[18:19], null, s12, v30, 0
	v_lshlrev_b64 v[9:10], 3, v[9:10]
	v_mov_b32_e32 v12, v15
	v_mad_u64_u32 v[26:27], null, s12, v34, 0
	v_mov_b32_e32 v15, v17
	v_lshlrev_b64 v[13:14], 3, v[13:14]
	v_add_co_u32 v9, vcc_lo, v39, v9
	v_lshlrev_b64 v[11:12], 3, v[11:12]
	v_mad_u64_u32 v[20:21], null, s13, v20, v[15:16]
	v_mad_u64_u32 v[21:22], null, s12, v31, 0
	v_mov_b32_e32 v15, v19
	v_add_co_ci_u32_e32 v10, vcc_lo, v40, v10, vcc_lo
	v_add_co_u32 v13, vcc_lo, v39, v13
	v_mov_b32_e32 v17, v20
	v_mad_u64_u32 v[19:20], null, s13, v30, v[15:16]
	v_mov_b32_e32 v15, v22
	v_add_nc_u32_e32 v20, 0x4d, v86
	v_add_co_ci_u32_e32 v14, vcc_lo, v40, v14, vcc_lo
	v_add_co_u32 v11, vcc_lo, v39, v11
	v_mad_u64_u32 v[31:32], null, s13, v31, v[15:16]
	v_lshlrev_b64 v[16:17], 3, v[16:17]
	v_mov_b32_e32 v15, v27
	v_mad_u64_u32 v[32:33], null, s12, v20, 0
	v_add_co_ci_u32_e32 v12, vcc_lo, v40, v12, vcc_lo
	v_mad_u64_u32 v[34:35], null, s13, v34, v[15:16]
	v_add_co_u32 v35, vcc_lo, v39, v16
	v_add_co_ci_u32_e32 v36, vcc_lo, v40, v17, vcc_lo
	v_lshlrev_b64 v[16:17], 3, v[18:19]
	v_mov_b32_e32 v15, v33
	v_mov_b32_e32 v22, v31
	;; [unrolled: 1-line block ×4, first 2 shown]
	v_mad_u64_u32 v[18:19], null, s13, v20, v[15:16]
	v_lshlrev_b64 v[19:20], 3, v[21:22]
	v_add_co_u32 v15, vcc_lo, v39, v16
	v_lshlrev_b64 v[21:22], 3, v[26:27]
	v_add_co_ci_u32_e32 v16, vcc_lo, v40, v17, vcc_lo
	v_mov_b32_e32 v33, v18
	v_add_co_u32 v37, vcc_lo, v39, v19
	v_add_co_ci_u32_e32 v38, vcc_lo, v40, v20, vcc_lo
	v_lshlrev_b64 v[17:18], 3, v[32:33]
	v_add_co_u32 v31, vcc_lo, v39, v21
	v_add_co_ci_u32_e32 v32, vcc_lo, v40, v22, vcc_lo
	v_add_co_u32 v33, vcc_lo, v39, v17
	v_add_co_ci_u32_e32 v34, vcc_lo, v40, v18, vcc_lo
	s_clause 0x7
	global_load_dwordx2 v[21:22], v[9:10], off
	global_load_dwordx2 v[19:20], v[13:14], off
	;; [unrolled: 1-line block ×8, first 2 shown]
	v_mov_b32_e32 v31, v29
	v_mov_b32_e32 v32, v30
.LBB0_9:
	s_or_b32 exec_lo, exec_lo, s0
.LBB0_10:
	v_mov_b32_e32 v54, 3
	s_waitcnt vmcnt(10)
	v_sub_f32_e32 v7, v5, v7
	v_sub_f32_e32 v8, v6, v8
	v_mul_u32_u24_e32 v28, 0x1b0, v86
	s_waitcnt vmcnt(8)
	v_sub_f32_e32 v1, v3, v1
	v_lshlrev_b32_sdwa v23, v54, v23 dst_sel:DWORD dst_unused:UNUSED_PAD src0_sel:DWORD src1_sel:WORD_0
	v_sub_f32_e32 v2, v4, v2
	v_mul_i32_i24_e32 v29, 0x1b0, v87
	v_fma_f32 v5, v5, 2.0, -v7
	v_fma_f32 v6, v6, 2.0, -v8
	v_add3_u32 v28, 0, v28, v23
	s_waitcnt vmcnt(6)
	v_sub_f32_e32 v19, v21, v19
	v_sub_f32_e32 v20, v22, v20
	v_mul_i32_i24_e32 v30, 0x1b0, v31
	v_fma_f32 v3, v3, 2.0, -v1
	v_fma_f32 v4, v4, 2.0, -v2
	s_waitcnt vmcnt(4)
	v_sub_f32_e32 v26, v17, v26
	v_sub_f32_e32 v27, v18, v27
	v_add3_u32 v29, 0, v29, v23
	s_waitcnt vmcnt(2)
	v_sub_f32_e32 v15, v11, v15
	v_sub_f32_e32 v16, v12, v16
	ds_write2_b64 v28, v[5:6], v[7:8] offset1:27
	v_mul_i32_i24_e32 v5, 0x1b0, v32
	s_waitcnt vmcnt(0)
	v_sub_f32_e32 v13, v9, v13
	v_sub_f32_e32 v14, v10, v14
	v_fma_f32 v21, v21, 2.0, -v19
	v_fma_f32 v22, v22, 2.0, -v20
	v_add3_u32 v30, 0, v30, v23
	v_fma_f32 v17, v17, 2.0, -v26
	v_fma_f32 v18, v18, 2.0, -v27
	ds_write2_b64 v29, v[3:4], v[1:2] offset1:27
	v_and_b32_e32 v29, 1, v86
	v_add_nc_u32_e32 v1, 0x2000, v28
	v_fma_f32 v11, v11, 2.0, -v15
	v_fma_f32 v12, v12, 2.0, -v16
	v_add3_u32 v33, 0, v5, v23
	v_fma_f32 v9, v9, 2.0, -v13
	v_fma_f32 v10, v10, 2.0, -v14
	v_add_nc_u32_e32 v2, 0x3800, v28
	ds_write2_b64 v30, v[21:22], v[19:20] offset1:27
	ds_write2_b64 v1, v[17:18], v[26:27] offset0:110 offset1:137
	ds_write2_b64 v33, v[11:12], v[15:16] offset1:27
	ds_write2_b64 v2, v[9:10], v[13:14] offset0:98 offset1:125
	v_and_b32_e32 v19, 1, v87
	v_mul_u32_u24_e32 v3, 5, v29
	s_waitcnt lgkmcnt(0)
	s_barrier
	buffer_gl0_inv
	v_mul_u32_u24_e32 v2, 5, v19
	v_lshlrev_b32_e32 v1, 3, v3
	s_clause 0x1
	global_load_dwordx4 v[3:6], v1, s[18:19]
	global_load_dwordx4 v[7:10], v1, s[18:19] offset:16
	v_lshlrev_b32_e32 v2, 3, v2
	s_clause 0x3
	global_load_dwordx2 v[34:35], v1, s[18:19] offset:32
	global_load_dwordx4 v[11:14], v2, s[18:19]
	global_load_dwordx4 v[15:18], v2, s[18:19] offset:16
	global_load_dwordx2 v[36:37], v2, s[18:19] offset:32
	v_lshrrev_b32_e32 v1, 1, v87
	v_lshrrev_b32_e32 v2, 1, v86
	v_mul_i32_i24_e32 v20, 0xd8, v87
	v_cmp_gt_u32_e64 s0, 0x87, v0
	s_mov_b32 s6, 0
	v_mul_lo_u32 v21, v1, 12
	v_mul_u32_u24_e32 v22, 12, v2
	v_mad_i32_i24 v1, 0xffffff28, v86, v28
	v_add3_u32 v2, 0, v20, v23
	v_mad_i32_i24 v20, 0xffffff28, v31, v30
	v_or_b32_e32 v30, v22, v29
	v_mad_i32_i24 v22, 0xffffff28, v32, v33
	v_or_b32_e32 v26, v21, v19
	v_add_nc_u32_e32 v19, 0x1c00, v1
	v_add_nc_u32_e32 v27, 0x2800, v1
	;; [unrolled: 1-line block ×3, first 2 shown]
	ds_read_b64 v[38:39], v20
	ds_read_b64 v[40:41], v22
	ds_read2_b64 v[19:22], v19 offset0:49 offset1:238
	v_mul_lo_u32 v50, 0xd8, v26
	ds_read2_b64 v[26:29], v27 offset0:43 offset1:232
	v_mul_u32_u24_e32 v51, 0xd8, v30
	ds_read2_b64 v[30:33], v31 offset0:37 offset1:226
	ds_read_b64 v[42:43], v1
	ds_read_b64 v[44:45], v1 offset:4536
	ds_read_b64 v[46:47], v2
	ds_read_b64 v[48:49], v1 offset:16632
	s_waitcnt vmcnt(0) lgkmcnt(0)
	s_barrier
	buffer_gl0_inv
	v_add3_u32 v51, 0, v51, v23
	v_add3_u32 v23, 0, v50, v23
	v_add_nc_u32_e32 v50, 0x400, v51
	v_add_nc_u32_e32 v52, 0x400, v23
	v_mul_f32_e32 v53, v4, v39
	v_mul_f32_e32 v55, v4, v38
	;; [unrolled: 1-line block ×20, first 2 shown]
	v_fma_f32 v38, v3, v38, -v53
	v_fmac_f32_e32 v55, v3, v39
	v_fma_f32 v3, v5, v40, -v4
	v_fma_f32 v4, v7, v21, -v56
	v_fmac_f32_e32 v8, v7, v22
	v_fma_f32 v7, v32, v34, -v58
	v_fmac_f32_e32 v35, v33, v34
	v_fmac_f32_e32 v6, v5, v41
	v_fma_f32 v5, v9, v28, -v57
	v_fmac_f32_e32 v10, v9, v29
	v_fma_f32 v9, v44, v11, -v59
	;; [unrolled: 2-line block ×6, first 2 shown]
	v_fmac_f32_e32 v37, v49, v36
	v_add_f32_e32 v27, v4, v7
	v_sub_f32_e32 v28, v8, v35
	v_add_f32_e32 v29, v55, v8
	v_add_f32_e32 v8, v8, v35
	;; [unrolled: 1-line block ×4, first 2 shown]
	v_sub_f32_e32 v21, v6, v10
	v_add_f32_e32 v22, v43, v6
	v_add_f32_e32 v6, v6, v10
	;; [unrolled: 1-line block ×3, first 2 shown]
	v_sub_f32_e32 v32, v14, v18
	v_add_f32_e32 v33, v47, v14
	v_add_f32_e32 v14, v14, v18
	;; [unrolled: 1-line block ×3, first 2 shown]
	v_sub_f32_e32 v39, v16, v37
	v_add_f32_e32 v40, v12, v16
	v_add_f32_e32 v16, v16, v37
	v_sub_f32_e32 v4, v4, v7
	v_add_f32_e32 v34, v9, v13
	v_fmac_f32_e32 v38, -0.5, v27
	v_fmac_f32_e32 v55, -0.5, v8
	v_add_f32_e32 v30, v46, v11
	v_sub_f32_e32 v3, v3, v5
	v_add_f32_e32 v31, v11, v15
	v_sub_f32_e32 v11, v11, v15
	v_sub_f32_e32 v13, v13, v17
	v_add_f32_e32 v5, v19, v5
	v_fma_f32 v19, -0.5, v20, v42
	v_add_f32_e32 v10, v22, v10
	v_fmac_f32_e32 v43, -0.5, v6
	v_add_f32_e32 v6, v26, v7
	v_add_f32_e32 v7, v29, v35
	v_fmac_f32_e32 v47, -0.5, v14
	v_fmac_f32_e32 v9, -0.5, v36
	;; [unrolled: 1-line block ×3, first 2 shown]
	v_add_f32_e32 v18, v33, v18
	v_add_f32_e32 v14, v34, v17
	v_add_f32_e32 v17, v40, v37
	v_fmamk_f32 v22, v28, 0x3f5db3d7, v38
	v_fmamk_f32 v26, v4, 0xbf5db3d7, v55
	v_add_f32_e32 v15, v30, v15
	v_fmac_f32_e32 v38, 0xbf5db3d7, v28
	v_fmac_f32_e32 v55, 0x3f5db3d7, v4
	v_fma_f32 v20, -0.5, v31, v46
	v_fmamk_f32 v16, v21, 0x3f5db3d7, v19
	v_fmac_f32_e32 v19, 0xbf5db3d7, v21
	v_fmamk_f32 v21, v3, 0xbf5db3d7, v43
	v_fmac_f32_e32 v43, 0x3f5db3d7, v3
	v_add_f32_e32 v3, v5, v6
	v_add_f32_e32 v4, v10, v7
	v_sub_f32_e32 v5, v5, v6
	v_sub_f32_e32 v6, v10, v7
	v_fmamk_f32 v31, v11, 0xbf5db3d7, v47
	v_fmac_f32_e32 v47, 0x3f5db3d7, v11
	v_fmamk_f32 v10, v39, 0x3f5db3d7, v9
	v_fmamk_f32 v11, v13, 0xbf5db3d7, v12
	v_fmac_f32_e32 v9, 0xbf5db3d7, v39
	v_fmac_f32_e32 v12, 0x3f5db3d7, v13
	v_add_f32_e32 v8, v18, v17
	v_sub_f32_e32 v29, v18, v17
	v_mul_f32_e32 v13, 0x3f5db3d7, v26
	v_mul_f32_e32 v17, 0xbf5db3d7, v22
	v_add_f32_e32 v7, v15, v14
	v_sub_f32_e32 v28, v15, v14
	v_mul_f32_e32 v14, -0.5, v38
	v_mul_f32_e32 v18, -0.5, v55
	v_fmamk_f32 v30, v32, 0x3f5db3d7, v20
	v_fmac_f32_e32 v20, 0xbf5db3d7, v32
	v_mul_f32_e32 v32, 0x3f5db3d7, v11
	v_mul_f32_e32 v36, 0xbf5db3d7, v10
	v_mul_f32_e32 v33, -0.5, v9
	v_mul_f32_e32 v37, -0.5, v12
	v_fmac_f32_e32 v13, 0.5, v22
	v_fmac_f32_e32 v17, 0.5, v26
	v_fmac_f32_e32 v14, 0x3f5db3d7, v55
	v_fmac_f32_e32 v18, 0xbf5db3d7, v38
	v_fmac_f32_e32 v32, 0.5, v10
	v_fmac_f32_e32 v36, 0.5, v11
	v_fmac_f32_e32 v33, 0x3f5db3d7, v12
	v_fmac_f32_e32 v37, 0xbf5db3d7, v9
	v_add_f32_e32 v9, v16, v13
	v_add_f32_e32 v10, v21, v17
	;; [unrolled: 1-line block ×4, first 2 shown]
	v_sub_f32_e32 v13, v16, v13
	v_sub_f32_e32 v15, v19, v14
	;; [unrolled: 1-line block ×4, first 2 shown]
	v_add_f32_e32 v26, v30, v32
	v_add_f32_e32 v27, v31, v36
	v_add_f32_e32 v34, v20, v33
	v_add_f32_e32 v35, v47, v37
	v_sub_f32_e32 v32, v30, v32
	v_sub_f32_e32 v30, v20, v33
	;; [unrolled: 1-line block ×4, first 2 shown]
	ds_write2_b64 v51, v[3:4], v[9:10] offset1:54
	ds_write2_b64 v51, v[11:12], v[5:6] offset0:108 offset1:162
	ds_write2_b64 v50, v[13:14], v[15:16] offset0:88 offset1:142
	ds_write2_b64 v23, v[7:8], v[26:27] offset1:54
	ds_write2_b64 v23, v[34:35], v[28:29] offset0:108 offset1:162
	ds_write2_b64 v52, v[32:33], v[30:31] offset0:88 offset1:142
	s_waitcnt lgkmcnt(0)
	s_barrier
	buffer_gl0_inv
	ds_read_b64 v[40:41], v1
	ds_read_b64 v[52:53], v1 offset:2592
	ds_read_b64 v[50:51], v1 offset:5184
	;; [unrolled: 1-line block ×6, first 2 shown]
                                        ; implicit-def: $vgpr39
                                        ; implicit-def: $vgpr37
	s_and_saveexec_b32 s7, s0
	s_cbranch_execz .LBB0_12
; %bb.11:
	v_add_nc_u32_e32 v0, 0x1800, v1
	ds_read_b64 v[34:35], v1 offset:4104
	ds_read_b64 v[32:33], v1 offset:9288
	;; [unrolled: 1-line block ×4, first 2 shown]
	ds_read2_b32 v[28:29], v0 offset0:138 offset1:139
	ds_read_b64 v[26:27], v2
	ds_read_b64 v[38:39], v1 offset:17064
.LBB0_12:
	s_or_b32 exec_lo, exec_lo, s7
	v_mul_lo_u16 v0, v86, 22
	s_load_dwordx2 s[4:5], s[4:5], 0x8
	s_andn2_b32 vcc_lo, exec_lo, s1
	v_lshrrev_b16 v0, 8, v0
	v_mul_lo_u16 v0, v0, 12
	v_sub_nc_u16 v0, v86, v0
	v_and_b32_e32 v89, 0xff, v0
	v_add_nc_u32_e32 v90, 12, v89
	v_mul_lo_u32 v1, v24, v89
	v_mul_u32_u24_e32 v0, 6, v89
	v_add_nc_u32_e32 v92, 24, v89
	v_add_nc_u32_e32 v91, 36, v89
	v_mul_lo_u32 v2, v24, v90
	v_add_nc_u32_e32 v93, 60, v89
	v_lshlrev_b32_e32 v0, 3, v0
	v_mul_lo_u32 v12, v24, v92
	v_bfe_u32 v3, v1, 8, 8
	v_lshlrev_b32_sdwa v13, v54, v1 dst_sel:DWORD dst_unused:UNUSED_PAD src0_sel:DWORD src1_sel:BYTE_0
	s_clause 0x1
	global_load_dwordx4 v[8:11], v0, s[18:19] offset:80
	global_load_dwordx4 v[4:7], v0, s[18:19] offset:96
	v_bfe_u32 v15, v2, 8, 8
	global_load_dwordx4 v[20:23], v0, s[18:19] offset:112
	v_or_b32_e32 v0, 48, v89
	v_lshl_or_b32 v3, v3, 3, 0x800
	v_mul_lo_u32 v14, v24, v91
	s_waitcnt lgkmcnt(0)
	s_clause 0x1
	global_load_dwordx2 v[58:59], v13, s[4:5]
	global_load_dwordx2 v[60:61], v3, s[4:5]
	v_lshlrev_b32_sdwa v3, v54, v2 dst_sel:DWORD dst_unused:UNUSED_PAD src0_sel:DWORD src1_sel:BYTE_0
	v_lshl_or_b32 v13, v15, 3, 0x800
	v_bfe_u32 v15, v12, 8, 8
	v_mul_lo_u32 v0, v24, v0
	v_bfe_u32 v16, v14, 8, 8
	v_lshlrev_b32_sdwa v17, v54, v12 dst_sel:DWORD dst_unused:UNUSED_PAD src0_sel:DWORD src1_sel:BYTE_0
	v_add_nc_u32_e32 v94, 0x48, v89
	s_clause 0x1
	global_load_dwordx2 v[74:75], v3, s[4:5]
	global_load_dwordx2 v[76:77], v13, s[4:5]
	v_lshl_or_b32 v3, v15, 3, 0x800
	v_mul_lo_u32 v13, v24, v93
	v_lshlrev_b32_sdwa v15, v54, v14 dst_sel:DWORD dst_unused:UNUSED_PAD src0_sel:DWORD src1_sel:BYTE_0
	v_lshl_or_b32 v16, v16, 3, 0x800
	s_clause 0x1
	global_load_dwordx2 v[78:79], v17, s[4:5]
	global_load_dwordx2 v[80:81], v3, s[4:5]
	v_bfe_u32 v17, v0, 8, 8
	v_mul_lo_u32 v3, v24, v94
	s_clause 0x1
	global_load_dwordx2 v[82:83], v15, s[4:5]
	global_load_dwordx2 v[84:85], v16, s[4:5]
	v_lshlrev_b32_sdwa v16, v54, v0 dst_sel:DWORD dst_unused:UNUSED_PAD src0_sel:DWORD src1_sel:BYTE_0
	v_bfe_u32 v15, v13, 8, 8
	v_lshl_or_b32 v17, v17, 3, 0x800
	v_lshlrev_b32_sdwa v18, v54, v13 dst_sel:DWORD dst_unused:UNUSED_PAD src0_sel:DWORD src1_sel:BYTE_0
	s_clause 0x1
	global_load_dwordx2 v[95:96], v16, s[4:5]
	global_load_dwordx2 v[97:98], v17, s[4:5]
	v_lshl_or_b32 v15, v15, 3, 0x800
	v_bfe_u32 v16, v3, 8, 8
	s_clause 0x1
	global_load_dwordx2 v[99:100], v18, s[4:5]
	global_load_dwordx2 v[101:102], v15, s[4:5]
	v_lshlrev_b32_sdwa v15, v54, v3 dst_sel:DWORD dst_unused:UNUSED_PAD src0_sel:DWORD src1_sel:BYTE_0
	v_lshl_or_b32 v16, v16, 3, 0x800
	s_clause 0x1
	global_load_dwordx2 v[103:104], v15, s[4:5]
	global_load_dwordx2 v[105:106], v16, s[4:5]
	v_and_b32_e32 v15, 0xff, v87
	v_bfe_u32 v0, v0, 16, 8
	v_bfe_u32 v1, v1, 16, 8
	;; [unrolled: 1-line block ×4, first 2 shown]
	v_mul_lo_u16 v15, 0xab, v15
	v_lshl_or_b32 v0, v0, 3, 0x1000
	v_lshl_or_b32 v1, v1, 3, 0x1000
	v_bfe_u32 v67, v13, 16, 8
	v_bfe_u32 v68, v12, 16, 8
	v_lshrrev_b16 v15, 11, v15
	s_clause 0x1
	global_load_dwordx2 v[72:73], v0, s[4:5]
	global_load_dwordx2 v[107:108], v1, s[4:5]
	v_bfe_u32 v69, v3, 16, 8
	v_mul_lo_u16 v15, v15, 12
	v_sub_nc_u16 v15, v87, v15
	v_and_b32_e32 v15, 0xff, v15
	v_mul_u32_u24_e32 v0, 6, v15
	v_mul_lo_u32 v16, v24, v15
	v_add_nc_u32_e32 v17, 12, v15
	v_add_nc_u32_e32 v18, 24, v15
	;; [unrolled: 1-line block ×3, first 2 shown]
	v_lshlrev_b32_e32 v57, 3, v0
	v_lshl_or_b32 v0, v2, 3, 0x1000
	v_or_b32_e32 v55, 48, v15
	v_add_nc_u32_e32 v56, 60, v15
	v_add_nc_u32_e32 v15, 0x48, v15
	v_mul_lo_u32 v62, v24, v17
	global_load_dwordx2 v[109:110], v0, s[4:5]
	v_mul_lo_u32 v63, v24, v18
	v_mul_lo_u32 v64, v24, v19
	;; [unrolled: 1-line block ×3, first 2 shown]
	v_bfe_u32 v70, v16, 8, 8
	v_bfe_u32 v71, v16, 16, 8
	v_lshlrev_b32_sdwa v119, v54, v16 dst_sel:DWORD dst_unused:UNUSED_PAD src0_sel:DWORD src1_sel:BYTE_0
	s_clause 0x2
	global_load_dwordx4 v[0:3], v57, s[18:19] offset:80
	global_load_dwordx4 v[12:15], v57, s[18:19] offset:112
	;; [unrolled: 1-line block ×3, first 2 shown]
	v_lshl_or_b32 v57, v66, 3, 0x1000
	v_lshl_or_b32 v66, v67, 3, 0x1000
	;; [unrolled: 1-line block ×3, first 2 shown]
	s_clause 0x1
	global_load_dwordx2 v[111:112], v57, s[4:5]
	global_load_dwordx2 v[113:114], v67, s[4:5]
	v_mul_lo_u32 v56, v24, v56
	global_load_dwordx2 v[115:116], v66, s[4:5]
	v_lshl_or_b32 v68, v69, 3, 0x1000
	v_lshl_or_b32 v69, v70, 3, 0x800
	;; [unrolled: 1-line block ×3, first 2 shown]
	v_lshlrev_b32_sdwa v71, v54, v62 dst_sel:DWORD dst_unused:UNUSED_PAD src0_sel:DWORD src1_sel:BYTE_0
	v_bfe_u32 v120, v62, 8, 8
	v_bfe_u32 v121, v62, 16, 8
	v_mul_lo_u32 v55, v24, v55
	v_lshlrev_b32_sdwa v122, v54, v63 dst_sel:DWORD dst_unused:UNUSED_PAD src0_sel:DWORD src1_sel:BYTE_0
	v_bfe_u32 v67, v63, 8, 8
	v_bfe_u32 v123, v63, 16, 8
	v_lshlrev_b32_sdwa v124, v54, v64 dst_sel:DWORD dst_unused:UNUSED_PAD src0_sel:DWORD src1_sel:BYTE_0
	v_bfe_u32 v125, v64, 8, 8
	s_waitcnt vmcnt(25)
	v_mul_f32_e32 v127, v11, v50
	v_mul_f32_e32 v57, v9, v53
	;; [unrolled: 1-line block ×4, first 2 shown]
	s_waitcnt vmcnt(24)
	v_mul_f32_e32 v130, v5, v48
	v_fmac_f32_e32 v127, v10, v51
	v_mul_f32_e32 v51, v5, v49
	v_bfe_u32 v9, v64, 16, 8
	v_fma_f32 v128, v8, v52, -v57
	v_fmac_f32_e32 v126, v8, v53
	v_fma_f32 v129, v10, v50, -v62
	v_lshlrev_b32_sdwa v10, v54, v56 dst_sel:DWORD dst_unused:UNUSED_PAD src0_sel:DWORD src1_sel:BYTE_0
	v_bfe_u32 v50, v56, 8, 8
	v_bfe_u32 v5, v56, 16, 8
	v_mul_f32_e32 v53, v7, v47
	v_fma_f32 v131, v4, v48, -v51
	v_fmac_f32_e32 v130, v4, v49
	v_mul_f32_e32 v132, v7, v46
	v_lshlrev_b32_sdwa v4, v54, v65 dst_sel:DWORD dst_unused:UNUSED_PAD src0_sel:DWORD src1_sel:BYTE_0
	v_bfe_u32 v7, v65, 8, 8
	v_bfe_u32 v48, v65, 16, 8
	s_clause 0x3
	global_load_dwordx2 v[117:118], v68, s[4:5]
	global_load_dwordx2 v[62:63], v119, s[4:5]
	global_load_dwordx2 v[64:65], v69, s[4:5]
	global_load_dwordx2 v[56:57], v70, s[4:5]
	s_waitcnt vmcnt(27)
	v_mul_f32_e32 v49, v21, v45
	v_mul_f32_e32 v119, v21, v44
	v_bfe_u32 v52, v55, 16, 8
	v_lshl_or_b32 v136, v7, 3, 0x800
	s_waitcnt vmcnt(23)
	v_mul_f32_e32 v7, v75, v77
	v_fma_f32 v133, v6, v46, -v53
	v_fmac_f32_e32 v132, v6, v47
	v_lshl_or_b32 v6, v120, 3, 0x800
	v_lshl_or_b32 v46, v121, 3, 0x1000
	v_fma_f32 v121, v20, v44, -v49
	v_fmac_f32_e32 v119, v20, v45
	v_mul_f32_e32 v20, v23, v43
	v_bfe_u32 v11, v55, 8, 8
	v_lshl_or_b32 v47, v67, 3, 0x800
	v_lshl_or_b32 v21, v123, 3, 0x1000
	v_mul_f32_e32 v123, v23, v42
	v_lshl_or_b32 v23, v52, 3, 0x1000
	v_mul_f32_e32 v77, v74, v77
	s_clause 0x3
	global_load_dwordx2 v[68:69], v71, s[4:5]
	global_load_dwordx2 v[70:71], v6, s[4:5]
	;; [unrolled: 1-line block ×4, first 2 shown]
	s_waitcnt vmcnt(25)
	v_mul_f32_e32 v6, v79, v81
	v_mul_f32_e32 v81, v78, v81
	v_fma_f32 v74, v74, v76, -v7
	s_waitcnt vmcnt(23)
	v_mul_f32_e32 v7, v83, v85
	v_lshl_or_b32 v9, v9, 3, 0x1000
	v_fma_f32 v134, v22, v42, -v20
	v_mul_f32_e32 v20, v59, v61
	v_mul_f32_e32 v135, v58, v61
	v_lshlrev_b32_sdwa v8, v54, v55 dst_sel:DWORD dst_unused:UNUSED_PAD src0_sel:DWORD src1_sel:BYTE_0
	v_lshl_or_b32 v11, v11, 3, 0x800
	v_lshl_or_b32 v120, v125, 3, 0x800
	v_fmac_f32_e32 v77, v75, v76
	v_mul_f32_e32 v75, v82, v85
	v_fma_f32 v76, v78, v80, -v6
	v_fmac_f32_e32 v81, v79, v80
	s_waitcnt vmcnt(21)
	v_mul_f32_e32 v6, v96, v98
	v_fma_f32 v79, v82, v84, -v7
	s_waitcnt vmcnt(19)
	v_mul_f32_e32 v7, v100, v102
	v_lshl_or_b32 v125, v50, 3, 0x800
	v_lshl_or_b32 v5, v5, 3, 0x1000
	;; [unrolled: 1-line block ×3, first 2 shown]
	v_fma_f32 v138, v58, v60, -v20
	v_fmac_f32_e32 v135, v59, v60
	s_clause 0x7
	global_load_dwordx2 v[60:61], v47, s[4:5]
	global_load_dwordx2 v[50:51], v21, s[4:5]
	;; [unrolled: 1-line block ×8, first 2 shown]
	s_waitcnt vmcnt(25)
	v_mul_f32_e32 v8, v104, v106
	v_fmac_f32_e32 v123, v22, v43
	v_fmac_f32_e32 v75, v83, v84
	v_fma_f32 v82, v95, v97, -v6
	v_fma_f32 v84, v99, v101, -v7
	s_clause 0x3
	global_load_dwordx2 v[22:23], v10, s[4:5]
	global_load_dwordx2 v[42:43], v125, s[4:5]
	;; [unrolled: 1-line block ×4, first 2 shown]
	v_fma_f32 v85, v103, v105, -v8
	s_clause 0x1
	global_load_dwordx2 v[8:9], v136, s[4:5]
	global_load_dwordx2 v[4:5], v137, s[4:5]
	v_mul_f32_e32 v80, v99, v102
	v_mul_f32_e32 v83, v103, v106
	s_waitcnt vmcnt(29)
	v_mul_f32_e32 v106, v135, v108
	v_mul_f32_e32 v108, v138, v108
	;; [unrolled: 1-line block ×3, first 2 shown]
	v_fmac_f32_e32 v80, v100, v101
	v_fmac_f32_e32 v83, v104, v105
	v_add_f32_e32 v95, v128, v134
	v_add_f32_e32 v99, v129, v121
	v_sub_f32_e32 v100, v129, v121
	v_sub_f32_e32 v105, v133, v131
	v_fma_f32 v106, v107, v138, -v106
	s_waitcnt vmcnt(28)
	v_mul_f32_e32 v120, v77, v110
	v_fmac_f32_e32 v108, v107, v135
	v_mul_f32_e32 v107, v74, v110
	v_fmac_f32_e32 v78, v96, v97
	v_add_f32_e32 v96, v126, v123
	v_sub_f32_e32 v97, v128, v134
	v_add_f32_e32 v101, v127, v119
	v_add_f32_e32 v103, v131, v133
	;; [unrolled: 1-line block ×4, first 2 shown]
	v_fma_f32 v74, v109, v74, -v120
	v_fmac_f32_e32 v107, v109, v77
	v_add_f32_e32 v109, v105, v100
	v_sub_f32_e32 v98, v126, v123
	v_sub_f32_e32 v102, v127, v119
	;; [unrolled: 1-line block ×3, first 2 shown]
	v_add_f32_e32 v121, v101, v96
	v_sub_f32_e32 v120, v99, v95
	v_sub_f32_e32 v77, v101, v96
	;; [unrolled: 1-line block ×6, first 2 shown]
	v_add_f32_e32 v103, v103, v110
	v_sub_f32_e32 v110, v105, v100
	v_sub_f32_e32 v105, v97, v105
	;; [unrolled: 1-line block ×3, first 2 shown]
	v_add_f32_e32 v97, v109, v97
	s_waitcnt vmcnt(23)
	v_mul_f32_e32 v109, v81, v114
	v_mul_f32_e32 v114, v76, v114
	v_add_f32_e32 v122, v119, v102
	v_add_f32_e32 v104, v104, v121
	v_sub_f32_e32 v121, v119, v102
	v_sub_f32_e32 v102, v102, v98
	v_mul_f32_e32 v96, 0x3f4a47b2, v96
	v_fma_f32 v76, v113, v76, -v109
	v_fmac_f32_e32 v114, v113, v81
	v_mul_f32_e32 v81, v75, v112
	v_mul_f32_e32 v113, 0x3d64c772, v101
	;; [unrolled: 1-line block ×3, first 2 shown]
	v_sub_f32_e32 v119, v98, v119
	v_add_f32_e32 v98, v122, v98
	v_mul_f32_e32 v95, 0x3f4a47b2, v95
	v_mul_f32_e32 v109, 0x3d64c772, v99
	;; [unrolled: 1-line block ×4, first 2 shown]
	v_fma_f32 v122, v111, v79, -v81
	v_mul_f32_e32 v79, 0x3f5ff5aa, v100
	v_fmac_f32_e32 v112, v111, v75
	v_mul_f32_e32 v75, 0x3f5ff5aa, v102
	v_mul_f32_e32 v81, v78, v73
	v_add_f32_e32 v40, v103, v40
	v_add_f32_e32 v41, v104, v41
	v_mul_f32_e32 v73, v82, v73
	v_fmamk_f32 v101, v101, 0x3d64c772, v96
	v_fma_f32 v113, 0x3f3bfb3b, v77, -v113
	v_fma_f32 v77, 0xbf3bfb3b, v77, -v96
	s_waitcnt vmcnt(22)
	v_mul_f32_e32 v96, v84, v116
	v_fmamk_f32 v99, v99, 0x3d64c772, v95
	v_fma_f32 v109, 0x3f3bfb3b, v120, -v109
	v_fma_f32 v95, 0xbf3bfb3b, v120, -v95
	v_mul_f32_e32 v111, v80, v116
	v_fma_f32 v100, 0x3f5ff5aa, v100, -v110
	v_fmamk_f32 v110, v105, 0x3eae86e6, v110
	v_fma_f32 v79, 0xbeae86e6, v105, -v79
	v_fma_f32 v102, 0x3f5ff5aa, v102, -v121
	v_fmamk_f32 v116, v119, 0x3eae86e6, v121
	v_fma_f32 v75, 0xbeae86e6, v119, -v75
	v_fmac_f32_e32 v73, v72, v78
	v_fmac_f32_e32 v96, v115, v80
	v_fmamk_f32 v78, v103, 0xbf955555, v40
	v_fmamk_f32 v80, v104, 0xbf955555, v41
	v_fma_f32 v119, v72, v82, -v81
	v_fma_f32 v72, v115, v84, -v111
	v_fmac_f32_e32 v110, 0x3ee1c552, v97
	v_fmac_f32_e32 v116, 0x3ee1c552, v98
	;; [unrolled: 1-line block ×6, first 2 shown]
	v_mul_f32_e32 v81, v41, v108
	v_add_f32_e32 v84, v101, v80
	v_add_f32_e32 v97, v113, v80
	;; [unrolled: 1-line block ×4, first 2 shown]
	v_fma_f32 v82, v40, v106, -v81
	v_add_f32_e32 v104, v110, v84
	v_add_f32_e32 v103, v79, v77
	v_sub_f32_e32 v101, v80, v102
	v_mul_f32_e32 v109, v103, v96
	s_waitcnt vmcnt(21)
	v_mul_f32_e32 v105, v83, v118
	v_mul_f32_e32 v118, v85, v118
	v_fma_f32 v105, v117, v85, -v105
	v_fmac_f32_e32 v118, v117, v83
	v_mul_f32_e32 v83, v40, v108
	v_add_f32_e32 v85, v99, v78
	v_add_f32_e32 v78, v95, v78
	v_sub_f32_e32 v40, v84, v110
	v_sub_f32_e32 v95, v77, v79
	v_fmac_f32_e32 v83, v41, v106
	v_add_f32_e32 v41, v116, v85
	v_add_f32_e32 v98, v75, v78
	;; [unrolled: 1-line block ×3, first 2 shown]
	v_sub_f32_e32 v97, v97, v100
	v_add_f32_e32 v100, v102, v80
	v_sub_f32_e32 v102, v78, v75
	v_sub_f32_e32 v106, v85, v116
	v_mul_f32_e32 v78, v40, v107
	v_mul_f32_e32 v85, v41, v107
	;; [unrolled: 1-line block ×11, first 2 shown]
	v_fma_f32 v84, v41, v74, -v78
	v_fmac_f32_e32 v85, v40, v74
	v_fma_f32 v80, v98, v76, -v80
	v_fmac_f32_e32 v81, v95, v76
	;; [unrolled: 2-line block ×6, first 2 shown]
	s_cbranch_vccnz .LBB0_14
; %bb.13:
	v_mad_u64_u32 v[40:41], null, s8, v88, 0
	v_mad_u64_u32 v[97:98], null, s12, v90, 0
	;; [unrolled: 1-line block ×4, first 2 shown]
	s_waitcnt vmcnt(4)
	v_mad_u64_u32 v[101:102], null, s9, v88, v[41:42]
	v_mov_b32_e32 v41, v98
	s_lshl_b64 s[4:5], s[2:3], 3
	v_mad_u64_u32 v[102:103], null, s13, v89, v[96:97]
	v_mov_b32_e32 v98, v100
	v_mad_u64_u32 v[103:104], null, s13, v90, v[41:42]
	v_mov_b32_e32 v41, v101
	s_add_u32 s1, s16, s4
	s_addc_u32 s4, s17, s5
	v_mov_b32_e32 v96, v102
	v_mad_u64_u32 v[100:101], null, s13, v92, v[98:99]
	v_lshlrev_b64 v[40:41], 3, v[40:41]
	v_mov_b32_e32 v98, v103
	v_lshlrev_b64 v[95:96], 3, v[95:96]
	v_add_nc_u32_e32 v105, 48, v89
	v_mad_u64_u32 v[101:102], null, s12, v91, 0
	v_add_co_u32 v40, vcc_lo, s1, v40
	v_add_co_ci_u32_e32 v41, vcc_lo, s4, v41, vcc_lo
	v_lshlrev_b64 v[97:98], 3, v[97:98]
	v_add_co_u32 v95, vcc_lo, v40, v95
	v_add_co_ci_u32_e32 v96, vcc_lo, v41, v96, vcc_lo
	s_and_b32 s6, s0, exec_lo
	global_store_dwordx2 v[95:96], v[82:83], off
	v_add_co_u32 v95, vcc_lo, v40, v97
	v_add_co_ci_u32_e32 v96, vcc_lo, v41, v98, vcc_lo
	v_lshlrev_b64 v[97:98], 3, v[99:100]
	v_mad_u64_u32 v[99:100], null, s12, v105, 0
	global_store_dwordx2 v[95:96], v[84:85], off
	v_mov_b32_e32 v95, v102
	v_add_co_u32 v96, vcc_lo, v40, v97
	v_add_co_ci_u32_e32 v97, vcc_lo, v41, v98, vcc_lo
	v_mov_b32_e32 v98, v100
	v_mad_u64_u32 v[102:103], null, s13, v91, v[95:96]
	v_mad_u64_u32 v[103:104], null, s12, v93, 0
	;; [unrolled: 1-line block ×3, first 2 shown]
	global_store_dwordx2 v[96:97], v[80:81], off
	v_mad_u64_u32 v[106:107], null, s12, v94, 0
	v_lshlrev_b64 v[96:97], 3, v[101:102]
	v_mov_b32_e32 v95, v104
	v_mov_b32_e32 v100, v105
	v_mad_u64_u32 v[101:102], null, s13, v93, v[95:96]
	v_lshlrev_b64 v[99:100], 3, v[99:100]
	v_mov_b32_e32 v98, v107
	v_add_co_u32 v95, vcc_lo, v40, v96
	v_add_co_ci_u32_e32 v96, vcc_lo, v41, v97, vcc_lo
	v_mad_u64_u32 v[107:108], null, s13, v94, v[98:99]
	v_mov_b32_e32 v104, v101
	v_add_co_u32 v97, vcc_lo, v40, v99
	v_add_co_ci_u32_e32 v98, vcc_lo, v41, v100, vcc_lo
	global_store_dwordx2 v[95:96], v[78:79], off
	v_lshlrev_b64 v[95:96], 3, v[103:104]
	global_store_dwordx2 v[97:98], v[76:77], off
	v_lshlrev_b64 v[97:98], 3, v[106:107]
	v_add_co_u32 v95, vcc_lo, v40, v95
	v_add_co_ci_u32_e32 v96, vcc_lo, v41, v96, vcc_lo
	v_add_co_u32 v97, vcc_lo, v40, v97
	v_add_co_ci_u32_e32 v98, vcc_lo, v41, v98, vcc_lo
	global_store_dwordx2 v[95:96], v[74:75], off
	global_store_dwordx2 v[97:98], v[72:73], off
	s_cbranch_execz .LBB0_15
	s_branch .LBB0_18
.LBB0_14:
                                        ; implicit-def: $vgpr40_vgpr41
.LBB0_15:
	s_mov_b32 s1, exec_lo
                                        ; implicit-def: $vgpr40_vgpr41
	v_cmpx_gt_u64_e64 s[14:15], v[24:25]
	s_cbranch_execz .LBB0_17
; %bb.16:
	v_mad_u64_u32 v[24:25], null, s8, v88, 0
	v_mad_u64_u32 v[40:41], null, s12, v89, 0
	;; [unrolled: 1-line block ×3, first 2 shown]
	s_lshl_b64 s[2:3], s[2:3], 3
	s_add_u32 s2, s16, s2
	v_mad_u64_u32 v[97:98], null, s9, v88, v[25:26]
	v_mad_u64_u32 v[98:99], null, s12, v92, 0
	s_waitcnt vmcnt(4)
	v_mad_u64_u32 v[100:101], null, s13, v89, v[41:42]
	v_mov_b32_e32 v88, v96
	s_addc_u32 s3, s17, s3
	v_mov_b32_e32 v25, v97
	s_and_b32 s0, s0, exec_lo
	v_mov_b32_e32 v96, v99
	v_mov_b32_e32 v41, v100
	v_mad_u64_u32 v[99:100], null, s13, v90, v[88:89]
	v_lshlrev_b64 v[24:25], 3, v[24:25]
	v_mad_u64_u32 v[100:101], null, s13, v92, v[96:97]
	v_lshlrev_b64 v[101:102], 3, v[40:41]
	v_add_nc_u32_e32 v92, 48, v89
	v_add_co_u32 v40, vcc_lo, s2, v24
	v_mov_b32_e32 v96, v99
	v_add_co_ci_u32_e32 v41, vcc_lo, s3, v25, vcc_lo
	v_add_co_u32 v24, vcc_lo, v40, v101
	v_lshlrev_b64 v[95:96], 3, v[95:96]
	v_add_co_ci_u32_e32 v25, vcc_lo, v41, v102, vcc_lo
	v_mad_u64_u32 v[101:102], null, s12, v91, 0
	v_mad_u64_u32 v[88:89], null, s12, v92, 0
	global_store_dwordx2 v[24:25], v[82:83], off
	v_add_co_u32 v24, vcc_lo, v40, v95
	v_add_co_ci_u32_e32 v25, vcc_lo, v41, v96, vcc_lo
	v_mov_b32_e32 v99, v100
	v_mad_u64_u32 v[95:96], null, s12, v94, 0
	global_store_dwordx2 v[24:25], v[84:85], off
	v_mov_b32_e32 v24, v102
	v_mov_b32_e32 v25, v89
	v_lshlrev_b64 v[82:83], 3, v[98:99]
	s_andn2_b32 s2, s6, exec_lo
	s_or_b32 s6, s2, s0
	v_mad_u64_u32 v[84:85], null, s13, v91, v[24:25]
	v_mad_u64_u32 v[90:91], null, s12, v93, 0
	;; [unrolled: 1-line block ×3, first 2 shown]
	v_add_co_u32 v82, vcc_lo, v40, v82
	v_add_co_ci_u32_e32 v83, vcc_lo, v41, v83, vcc_lo
	v_mov_b32_e32 v102, v84
	v_mov_b32_e32 v25, v91
	;; [unrolled: 1-line block ×4, first 2 shown]
	global_store_dwordx2 v[82:83], v[80:81], off
	v_lshlrev_b64 v[80:81], 3, v[101:102]
	v_mad_u64_u32 v[82:83], null, s13, v93, v[25:26]
	v_lshlrev_b64 v[83:84], 3, v[88:89]
	v_mad_u64_u32 v[24:25], null, s13, v94, v[24:25]
	v_add_co_u32 v80, vcc_lo, v40, v80
	v_add_co_ci_u32_e32 v81, vcc_lo, v41, v81, vcc_lo
	v_mov_b32_e32 v91, v82
	v_add_co_u32 v82, vcc_lo, v40, v83
	v_add_co_ci_u32_e32 v83, vcc_lo, v41, v84, vcc_lo
	v_mov_b32_e32 v96, v24
	v_lshlrev_b64 v[24:25], 3, v[90:91]
	global_store_dwordx2 v[80:81], v[78:79], off
	global_store_dwordx2 v[82:83], v[76:77], off
	v_lshlrev_b64 v[76:77], 3, v[95:96]
	v_add_co_u32 v24, vcc_lo, v40, v24
	v_add_co_ci_u32_e32 v25, vcc_lo, v41, v25, vcc_lo
	v_add_co_u32 v76, vcc_lo, v40, v76
	v_add_co_ci_u32_e32 v77, vcc_lo, v41, v77, vcc_lo
	global_store_dwordx2 v[24:25], v[74:75], off
	global_store_dwordx2 v[76:77], v[72:73], off
.LBB0_17:
	s_or_b32 exec_lo, exec_lo, s1
.LBB0_18:
	s_and_saveexec_b32 s0, s6
	s_cbranch_execnz .LBB0_20
; %bb.19:
	s_endpgm
.LBB0_20:
	v_mul_f32_e32 v24, v35, v1
	v_mul_f32_e32 v1, v34, v1
	;; [unrolled: 1-line block ×4, first 2 shown]
	v_fma_f32 v24, v34, v0, -v24
	v_fmac_f32_e32 v1, v35, v0
	v_mul_f32_e32 v0, v33, v17
	v_mul_f32_e32 v17, v32, v17
	v_fma_f32 v25, v28, v2, -v25
	v_mul_f32_e32 v28, v37, v13
	v_mul_f32_e32 v13, v36, v13
	v_fma_f32 v0, v32, v16, -v0
	v_fmac_f32_e32 v17, v33, v16
	v_mul_f32_e32 v16, v39, v15
	v_mul_f32_e32 v15, v38, v15
	;; [unrolled: 1-line block ×3, first 2 shown]
	v_fmac_f32_e32 v3, v29, v2
	v_mul_f32_e32 v19, v30, v19
	v_fma_f32 v16, v38, v14, -v16
	v_fmac_f32_e32 v15, v39, v14
	v_fma_f32 v14, v36, v12, -v28
	v_fmac_f32_e32 v13, v37, v12
	;; [unrolled: 2-line block ×3, first 2 shown]
	v_add_f32_e32 v12, v24, v16
	v_add_f32_e32 v18, v1, v15
	v_sub_f32_e32 v16, v24, v16
	v_sub_f32_e32 v1, v1, v15
	v_add_f32_e32 v15, v25, v14
	v_add_f32_e32 v24, v3, v13
	v_sub_f32_e32 v14, v25, v14
	v_sub_f32_e32 v3, v3, v13
	v_add_f32_e32 v13, v0, v2
	v_add_f32_e32 v25, v17, v19
	v_sub_f32_e32 v0, v2, v0
	v_sub_f32_e32 v2, v19, v17
	v_add_f32_e32 v17, v15, v12
	v_add_f32_e32 v19, v24, v18
	v_sub_f32_e32 v28, v15, v12
	v_sub_f32_e32 v29, v24, v18
	v_sub_f32_e32 v12, v12, v13
	v_sub_f32_e32 v18, v18, v25
	;; [unrolled: 1-line block ×4, first 2 shown]
	v_add_f32_e32 v30, v0, v14
	v_add_f32_e32 v31, v2, v3
	v_sub_f32_e32 v32, v0, v14
	v_sub_f32_e32 v33, v2, v3
	;; [unrolled: 1-line block ×3, first 2 shown]
	v_add_f32_e32 v13, v13, v17
	v_add_f32_e32 v17, v25, v19
	v_sub_f32_e32 v3, v3, v1
	v_sub_f32_e32 v0, v16, v0
	;; [unrolled: 1-line block ×3, first 2 shown]
	v_add_f32_e32 v16, v30, v16
	v_add_f32_e32 v1, v31, v1
	;; [unrolled: 1-line block ×4, first 2 shown]
	v_mul_f32_e32 v12, 0x3f4a47b2, v12
	v_mul_f32_e32 v18, 0x3f4a47b2, v18
	;; [unrolled: 1-line block ×8, first 2 shown]
	v_fmamk_f32 v13, v13, 0xbf955555, v19
	v_fmamk_f32 v17, v17, 0xbf955555, v25
	;; [unrolled: 1-line block ×4, first 2 shown]
	v_fma_f32 v26, 0x3f3bfb3b, v28, -v26
	v_fma_f32 v27, 0x3f3bfb3b, v29, -v27
	;; [unrolled: 1-line block ×4, first 2 shown]
	v_fmamk_f32 v28, v0, 0x3eae86e6, v30
	v_fmamk_f32 v29, v2, 0x3eae86e6, v31
	v_fma_f32 v3, 0x3f5ff5aa, v3, -v31
	v_fma_f32 v0, 0xbeae86e6, v0, -v32
	;; [unrolled: 1-line block ×3, first 2 shown]
	v_add_f32_e32 v15, v15, v13
	v_add_f32_e32 v26, v26, v13
	;; [unrolled: 1-line block ×4, first 2 shown]
	v_fmac_f32_e32 v29, 0x3ee1c552, v1
	v_fmac_f32_e32 v2, 0x3ee1c552, v1
	;; [unrolled: 1-line block ×4, first 2 shown]
	s_waitcnt vmcnt(19)
	v_mul_f32_e32 v1, v63, v65
	v_fma_f32 v14, 0x3f5ff5aa, v14, -v30
	v_add_f32_e32 v18, v2, v12
	v_sub_f32_e32 v30, v13, v0
	v_sub_f32_e32 v31, v26, v3
	v_add_f32_e32 v26, v3, v26
	v_sub_f32_e32 v33, v12, v2
	v_mul_f32_e32 v2, v62, v65
	s_waitcnt vmcnt(16)
	v_mul_f32_e32 v3, v69, v71
	v_fma_f32 v1, v62, v64, -v1
	v_add_f32_e32 v34, v0, v13
	v_mul_f32_e32 v0, v68, v71
	v_add_f32_e32 v27, v27, v17
	v_fmac_f32_e32 v14, 0x3ee1c552, v16
	v_fmac_f32_e32 v2, v63, v64
	v_fma_f32 v3, v68, v70, -v3
	v_mul_f32_e32 v12, v1, v57
	v_fmac_f32_e32 v0, v69, v70
	v_add_f32_e32 v24, v24, v17
	v_fmac_f32_e32 v28, 0x3ee1c552, v16
	v_add_f32_e32 v32, v14, v27
	v_sub_f32_e32 v27, v27, v14
	v_mul_f32_e32 v13, v2, v57
	s_waitcnt vmcnt(15)
	v_mul_f32_e32 v14, v3, v67
	v_fmac_f32_e32 v12, v56, v2
	v_mul_f32_e32 v2, v0, v67
	v_sub_f32_e32 v17, v24, v28
	v_fma_f32 v13, v56, v1, -v13
	v_fmac_f32_e32 v14, v66, v0
	v_mul_f32_e32 v0, v25, v12
	v_mul_f32_e32 v1, v19, v12
	v_fma_f32 v12, v66, v3, -v2
	s_waitcnt vmcnt(13)
	v_mul_f32_e32 v2, v53, v61
	v_add_f32_e32 v16, v29, v15
	v_sub_f32_e32 v29, v15, v29
	v_mul_f32_e32 v3, v17, v14
	v_fma_f32 v0, v19, v13, -v0
	v_mul_f32_e32 v15, v52, v61
	v_fmac_f32_e32 v1, v25, v13
	v_fma_f32 v13, v52, v60, -v2
	s_waitcnt vmcnt(10)
	v_mul_f32_e32 v19, v55, v59
	v_fma_f32 v2, v16, v12, -v3
	v_fmac_f32_e32 v15, v53, v60
	v_mul_f32_e32 v3, v16, v14
	v_mul_f32_e32 v14, v13, v51
	;; [unrolled: 1-line block ×3, first 2 shown]
	v_fma_f32 v19, v54, v58, -v19
	v_mul_f32_e32 v25, v15, v51
	v_fmac_f32_e32 v3, v17, v12
	v_fmac_f32_e32 v14, v50, v15
	;; [unrolled: 1-line block ×3, first 2 shown]
	s_waitcnt vmcnt(9)
	v_mul_f32_e32 v15, v19, v49
	s_waitcnt vmcnt(7)
	v_mul_f32_e32 v12, v45, v47
	v_add_f32_e32 v24, v28, v24
	v_fma_f32 v17, v50, v13, -v25
	v_mul_f32_e32 v28, v16, v49
	v_fmac_f32_e32 v15, v48, v16
	v_mul_f32_e32 v16, v44, v47
	v_fma_f32 v35, v44, v46, -v12
	v_mul_f32_e32 v25, v30, v14
	v_mul_f32_e32 v13, v18, v14
	v_fma_f32 v19, v48, v19, -v28
	v_fmac_f32_e32 v16, v45, v46
	s_waitcnt vmcnt(6)
	v_mul_f32_e32 v28, v35, v21
	v_fma_f32 v12, v18, v17, -v25
	v_fmac_f32_e32 v13, v30, v17
	v_mul_f32_e32 v14, v32, v15
	v_mul_f32_e32 v17, v16, v21
	v_fmac_f32_e32 v28, v20, v16
	s_waitcnt vmcnt(4)
	v_mul_f32_e32 v21, v22, v43
	v_mul_f32_e32 v16, v23, v43
	;; [unrolled: 1-line block ×3, first 2 shown]
	v_fma_f32 v18, v20, v35, -v17
	v_mul_f32_e32 v20, v27, v28
	v_mul_f32_e32 v17, v26, v28
	v_fmac_f32_e32 v21, v23, v42
	v_fma_f32 v22, v22, v42, -v16
	v_fma_f32 v14, v31, v19, -v14
	v_fmac_f32_e32 v15, v32, v19
	v_fma_f32 v16, v26, v18, -v20
	v_fmac_f32_e32 v17, v27, v18
	v_mad_u64_u32 v[18:19], null, s12, v87, 0
	s_waitcnt vmcnt(3)
	v_mul_f32_e32 v20, v21, v11
	v_mul_f32_e32 v11, v22, v11
	s_waitcnt vmcnt(1)
	v_mul_f32_e32 v23, v7, v9
	v_fma_f32 v20, v10, v22, -v20
	v_fmac_f32_e32 v11, v10, v21
	v_fma_f32 v21, v6, v8, -v23
	v_mul_f32_e32 v23, v6, v9
	v_mov_b32_e32 v6, v19
	v_add_nc_u32_e32 v22, 19, v86
	v_mul_f32_e32 v19, v34, v11
	s_waitcnt vmcnt(0)
	v_mul_f32_e32 v25, v21, v5
	v_fmac_f32_e32 v23, v7, v8
	v_mad_u64_u32 v[6:7], null, s13, v87, v[6:7]
	v_mad_u64_u32 v[9:10], null, s12, v22, 0
	v_fma_f32 v7, v33, v20, -v19
	v_mul_f32_e32 v5, v23, v5
	v_mul_f32_e32 v8, v33, v11
	v_fmac_f32_e32 v25, v4, v23
	v_mov_b32_e32 v19, v6
	v_add_nc_u32_e32 v23, 31, v86
	v_mad_u64_u32 v[10:11], null, s13, v22, v[10:11]
	v_fma_f32 v11, v4, v21, -v5
	v_lshlrev_b64 v[4:5], 3, v[18:19]
	v_mad_u64_u32 v[18:19], null, s12, v23, 0
	v_fmac_f32_e32 v8, v34, v20
	v_mul_f32_e32 v22, v24, v25
	v_mul_f32_e32 v6, v29, v25
	v_add_co_u32 v20, vcc_lo, v40, v4
	v_add_co_ci_u32_e32 v21, vcc_lo, v41, v5, vcc_lo
	v_lshlrev_b64 v[9:10], 3, v[9:10]
	v_fma_f32 v5, v29, v11, -v22
	v_fmac_f32_e32 v6, v24, v11
	global_store_dwordx2 v[20:21], v[0:1], off
	v_mov_b32_e32 v0, v19
	v_add_nc_u32_e32 v11, 43, v86
	v_add_co_u32 v9, vcc_lo, v40, v9
	v_add_co_ci_u32_e32 v10, vcc_lo, v41, v10, vcc_lo
	v_add_nc_u32_e32 v22, 55, v86
	v_add_nc_u32_e32 v25, 0x43, v86
	v_mad_u64_u32 v[0:1], null, s13, v23, v[0:1]
	v_mad_u64_u32 v[20:21], null, s12, v11, 0
	global_store_dwordx2 v[9:10], v[2:3], off
	v_mad_u64_u32 v[1:2], null, s12, v22, 0
	v_mad_u64_u32 v[3:4], null, s12, v25, 0
	v_mov_b32_e32 v19, v0
	v_mov_b32_e32 v0, v21
	v_lshlrev_b64 v[9:10], 3, v[18:19]
	v_mad_u64_u32 v[22:23], null, s13, v22, v[2:3]
	v_mad_u64_u32 v[18:19], null, s13, v11, v[0:1]
	v_add_nc_u32_e32 v11, 0x4f, v86
	v_mov_b32_e32 v0, v4
	v_add_co_u32 v9, vcc_lo, v40, v9
	v_mov_b32_e32 v2, v22
	v_mad_u64_u32 v[23:24], null, s12, v11, 0
	v_mov_b32_e32 v21, v18
	v_mad_u64_u32 v[18:19], null, s13, v25, v[0:1]
	v_lshlrev_b64 v[1:2], 3, v[1:2]
	v_add_co_ci_u32_e32 v10, vcc_lo, v41, v10, vcc_lo
	v_mov_b32_e32 v0, v24
	global_store_dwordx2 v[9:10], v[12:13], off
	v_lshlrev_b64 v[9:10], 3, v[20:21]
	v_mad_u64_u32 v[11:12], null, s13, v11, v[0:1]
	v_mov_b32_e32 v4, v18
	v_add_co_u32 v9, vcc_lo, v40, v9
	v_lshlrev_b64 v[3:4], 3, v[3:4]
	v_mov_b32_e32 v24, v11
	v_add_co_ci_u32_e32 v10, vcc_lo, v41, v10, vcc_lo
	v_add_co_u32 v0, vcc_lo, v40, v1
	v_lshlrev_b64 v[11:12], 3, v[23:24]
	v_add_co_ci_u32_e32 v1, vcc_lo, v41, v2, vcc_lo
	v_add_co_u32 v2, vcc_lo, v40, v3
	v_add_co_ci_u32_e32 v3, vcc_lo, v41, v4, vcc_lo
	v_add_co_u32 v11, vcc_lo, v40, v11
	v_add_co_ci_u32_e32 v12, vcc_lo, v41, v12, vcc_lo
	global_store_dwordx2 v[9:10], v[14:15], off
	global_store_dwordx2 v[0:1], v[16:17], off
	;; [unrolled: 1-line block ×4, first 2 shown]
	s_endpgm
	.section	.rodata,"a",@progbits
	.p2align	6, 0x0
	.amdhsa_kernel fft_rtc_fwd_len84_factors_2_6_7_wgs_189_tpt_7_dim2_sp_ip_CI_sbcc_twdbase8_3step_dirReg
		.amdhsa_group_segment_fixed_size 0
		.amdhsa_private_segment_fixed_size 0
		.amdhsa_kernarg_size 88
		.amdhsa_user_sgpr_count 6
		.amdhsa_user_sgpr_private_segment_buffer 1
		.amdhsa_user_sgpr_dispatch_ptr 0
		.amdhsa_user_sgpr_queue_ptr 0
		.amdhsa_user_sgpr_kernarg_segment_ptr 1
		.amdhsa_user_sgpr_dispatch_id 0
		.amdhsa_user_sgpr_flat_scratch_init 0
		.amdhsa_user_sgpr_private_segment_size 0
		.amdhsa_wavefront_size32 1
		.amdhsa_uses_dynamic_stack 0
		.amdhsa_system_sgpr_private_segment_wavefront_offset 0
		.amdhsa_system_sgpr_workgroup_id_x 1
		.amdhsa_system_sgpr_workgroup_id_y 0
		.amdhsa_system_sgpr_workgroup_id_z 0
		.amdhsa_system_sgpr_workgroup_info 0
		.amdhsa_system_vgpr_workitem_id 0
		.amdhsa_next_free_vgpr 139
		.amdhsa_next_free_sgpr 23
		.amdhsa_reserve_vcc 1
		.amdhsa_reserve_flat_scratch 0
		.amdhsa_float_round_mode_32 0
		.amdhsa_float_round_mode_16_64 0
		.amdhsa_float_denorm_mode_32 3
		.amdhsa_float_denorm_mode_16_64 3
		.amdhsa_dx10_clamp 1
		.amdhsa_ieee_mode 1
		.amdhsa_fp16_overflow 0
		.amdhsa_workgroup_processor_mode 1
		.amdhsa_memory_ordered 1
		.amdhsa_forward_progress 0
		.amdhsa_shared_vgpr_count 0
		.amdhsa_exception_fp_ieee_invalid_op 0
		.amdhsa_exception_fp_denorm_src 0
		.amdhsa_exception_fp_ieee_div_zero 0
		.amdhsa_exception_fp_ieee_overflow 0
		.amdhsa_exception_fp_ieee_underflow 0
		.amdhsa_exception_fp_ieee_inexact 0
		.amdhsa_exception_int_div_zero 0
	.end_amdhsa_kernel
	.text
.Lfunc_end0:
	.size	fft_rtc_fwd_len84_factors_2_6_7_wgs_189_tpt_7_dim2_sp_ip_CI_sbcc_twdbase8_3step_dirReg, .Lfunc_end0-fft_rtc_fwd_len84_factors_2_6_7_wgs_189_tpt_7_dim2_sp_ip_CI_sbcc_twdbase8_3step_dirReg
                                        ; -- End function
	.section	.AMDGPU.csdata,"",@progbits
; Kernel info:
; codeLenInByte = 8548
; NumSgprs: 25
; NumVgprs: 139
; ScratchSize: 0
; MemoryBound: 0
; FloatMode: 240
; IeeeMode: 1
; LDSByteSize: 0 bytes/workgroup (compile time only)
; SGPRBlocks: 3
; VGPRBlocks: 17
; NumSGPRsForWavesPerEU: 25
; NumVGPRsForWavesPerEU: 139
; Occupancy: 7
; WaveLimiterHint : 1
; COMPUTE_PGM_RSRC2:SCRATCH_EN: 0
; COMPUTE_PGM_RSRC2:USER_SGPR: 6
; COMPUTE_PGM_RSRC2:TRAP_HANDLER: 0
; COMPUTE_PGM_RSRC2:TGID_X_EN: 1
; COMPUTE_PGM_RSRC2:TGID_Y_EN: 0
; COMPUTE_PGM_RSRC2:TGID_Z_EN: 0
; COMPUTE_PGM_RSRC2:TIDIG_COMP_CNT: 0
	.text
	.p2alignl 6, 3214868480
	.fill 48, 4, 3214868480
	.type	__hip_cuid_683a1f014df553b8,@object ; @__hip_cuid_683a1f014df553b8
	.section	.bss,"aw",@nobits
	.globl	__hip_cuid_683a1f014df553b8
__hip_cuid_683a1f014df553b8:
	.byte	0                               ; 0x0
	.size	__hip_cuid_683a1f014df553b8, 1

	.ident	"AMD clang version 19.0.0git (https://github.com/RadeonOpenCompute/llvm-project roc-6.4.0 25133 c7fe45cf4b819c5991fe208aaa96edf142730f1d)"
	.section	".note.GNU-stack","",@progbits
	.addrsig
	.addrsig_sym __hip_cuid_683a1f014df553b8
	.amdgpu_metadata
---
amdhsa.kernels:
  - .args:
      - .actual_access:  read_only
        .address_space:  global
        .offset:         0
        .size:           8
        .value_kind:     global_buffer
      - .address_space:  global
        .offset:         8
        .size:           8
        .value_kind:     global_buffer
      - .actual_access:  read_only
        .address_space:  global
        .offset:         16
        .size:           8
        .value_kind:     global_buffer
      - .actual_access:  read_only
        .address_space:  global
        .offset:         24
        .size:           8
        .value_kind:     global_buffer
      - .offset:         32
        .size:           8
        .value_kind:     by_value
      - .actual_access:  read_only
        .address_space:  global
        .offset:         40
        .size:           8
        .value_kind:     global_buffer
      - .actual_access:  read_only
        .address_space:  global
        .offset:         48
        .size:           8
        .value_kind:     global_buffer
      - .offset:         56
        .size:           4
        .value_kind:     by_value
      - .actual_access:  read_only
        .address_space:  global
        .offset:         64
        .size:           8
        .value_kind:     global_buffer
      - .actual_access:  read_only
        .address_space:  global
        .offset:         72
        .size:           8
        .value_kind:     global_buffer
      - .address_space:  global
        .offset:         80
        .size:           8
        .value_kind:     global_buffer
    .group_segment_fixed_size: 0
    .kernarg_segment_align: 8
    .kernarg_segment_size: 88
    .language:       OpenCL C
    .language_version:
      - 2
      - 0
    .max_flat_workgroup_size: 189
    .name:           fft_rtc_fwd_len84_factors_2_6_7_wgs_189_tpt_7_dim2_sp_ip_CI_sbcc_twdbase8_3step_dirReg
    .private_segment_fixed_size: 0
    .sgpr_count:     25
    .sgpr_spill_count: 0
    .symbol:         fft_rtc_fwd_len84_factors_2_6_7_wgs_189_tpt_7_dim2_sp_ip_CI_sbcc_twdbase8_3step_dirReg.kd
    .uniform_work_group_size: 1
    .uses_dynamic_stack: false
    .vgpr_count:     139
    .vgpr_spill_count: 0
    .wavefront_size: 32
    .workgroup_processor_mode: 1
amdhsa.target:   amdgcn-amd-amdhsa--gfx1030
amdhsa.version:
  - 1
  - 2
...

	.end_amdgpu_metadata
